;; amdgpu-corpus repo=zjin-lcf/HeCBench kind=compiled arch=gfx906 opt=O3
	.amdgcn_target "amdgcn-amd-amdhsa--gfx906"
	.amdhsa_code_object_version 6
	.text
	.protected	_Z34MerklizeRescuePrimeApproach1Phase0mPKmPmPK15HIP_vector_typeImLj4EES5_S5_ ; -- Begin function _Z34MerklizeRescuePrimeApproach1Phase0mPKmPmPK15HIP_vector_typeImLj4EES5_S5_
	.globl	_Z34MerklizeRescuePrimeApproach1Phase0mPKmPmPK15HIP_vector_typeImLj4EES5_S5_
	.p2align	8
	.type	_Z34MerklizeRescuePrimeApproach1Phase0mPKmPmPK15HIP_vector_typeImLj4EES5_S5_,@function
_Z34MerklizeRescuePrimeApproach1Phase0mPKmPmPK15HIP_vector_typeImLj4EES5_S5_: ; @_Z34MerklizeRescuePrimeApproach1Phase0mPKmPmPK15HIP_vector_typeImLj4EES5_S5_
; %bb.0:
	s_add_u32 flat_scratch_lo, s12, s17
	s_mov_b32 s12, s14
	s_load_dword s14, s[8:9], 0x3c
	s_load_dwordx4 s[28:31], s[8:9], 0x20
	s_load_dwordx8 s[20:27], s[8:9], 0x0
	s_addc_u32 flat_scratch_hi, s13, 0
	s_add_u32 s0, s0, s17
	s_addc_u32 s1, s1, 0
	s_waitcnt lgkmcnt(0)
	s_and_b32 s14, s14, 0xffff
	s_mul_i32 s14, s12, s14
	v_add_u32_e32 v3, s14, v0
	v_mov_b32_e32 v4, 0
	v_lshlrev_b64 v[4:5], 4, v[3:4]
	v_mov_b32_e32 v7, s23
	v_add_co_u32_e32 v6, vcc, s22, v4
	v_addc_co_u32_e32 v4, vcc, v7, v5, vcc
	v_mov_b32_e32 v5, s21
	v_add_co_u32_e32 v7, vcc, s20, v3
	v_addc_co_u32_e32 v8, vcc, 0, v5, vcc
	v_lshlrev_b64 v[7:8], 5, v[7:8]
	s_add_u32 s8, s8, 48
	v_mov_b32_e32 v3, s25
	v_add_co_u32_e32 v5, vcc, s24, v7
	s_addc_u32 s9, s9, 0
	v_lshlrev_b32_e32 v2, 20, v2
	v_lshlrev_b32_e32 v1, 10, v1
	s_mov_b32 s13, s15
	v_addc_co_u32_e32 v3, vcc, v3, v8, vcc
	s_getpc_b64 s[18:19]
	s_add_u32 s18, s18, _Z5mergePKmPmPK15HIP_vector_typeImLj4EES5_S5_@rel32@lo+4
	s_addc_u32 s19, s19, _Z5mergePKmPmPK15HIP_vector_typeImLj4EES5_S5_@rel32@hi+12
	v_or3_b32 v31, v0, v1, v2
	s_mov_b32 s14, s16
	v_mov_b32_e32 v0, v6
	v_mov_b32_e32 v1, v4
	v_mov_b32_e32 v2, v5
	v_mov_b32_e32 v4, s26
	v_mov_b32_e32 v5, s27
	v_mov_b32_e32 v6, s28
	v_mov_b32_e32 v7, s29
	v_mov_b32_e32 v8, s30
	v_mov_b32_e32 v9, s31
	s_mov_b32 s32, 0
	s_swappc_b64 s[30:31], s[18:19]
	s_endpgm
	.section	.rodata,"a",@progbits
	.p2align	6, 0x0
	.amdhsa_kernel _Z34MerklizeRescuePrimeApproach1Phase0mPKmPmPK15HIP_vector_typeImLj4EES5_S5_
		.amdhsa_group_segment_fixed_size 0
		.amdhsa_private_segment_fixed_size 0
		.amdhsa_kernarg_size 304
		.amdhsa_user_sgpr_count 14
		.amdhsa_user_sgpr_private_segment_buffer 1
		.amdhsa_user_sgpr_dispatch_ptr 1
		.amdhsa_user_sgpr_queue_ptr 1
		.amdhsa_user_sgpr_kernarg_segment_ptr 1
		.amdhsa_user_sgpr_dispatch_id 1
		.amdhsa_user_sgpr_flat_scratch_init 1
		.amdhsa_user_sgpr_private_segment_size 0
		.amdhsa_uses_dynamic_stack 1
		.amdhsa_system_sgpr_private_segment_wavefront_offset 1
		.amdhsa_system_sgpr_workgroup_id_x 1
		.amdhsa_system_sgpr_workgroup_id_y 1
		.amdhsa_system_sgpr_workgroup_id_z 1
		.amdhsa_system_sgpr_workgroup_info 0
		.amdhsa_system_vgpr_workitem_id 2
		.amdhsa_next_free_vgpr max(totalnumvgprs(_Z34MerklizeRescuePrimeApproach1Phase0mPKmPmPK15HIP_vector_typeImLj4EES5_S5_.num_agpr, _Z34MerklizeRescuePrimeApproach1Phase0mPKmPmPK15HIP_vector_typeImLj4EES5_S5_.num_vgpr), 1, 0)
		.amdhsa_next_free_sgpr max(_Z34MerklizeRescuePrimeApproach1Phase0mPKmPmPK15HIP_vector_typeImLj4EES5_S5_.numbered_sgpr+6, 1, 0)-6
		.amdhsa_reserve_vcc 1
		.amdhsa_reserve_flat_scratch 1
		.amdhsa_float_round_mode_32 0
		.amdhsa_float_round_mode_16_64 0
		.amdhsa_float_denorm_mode_32 3
		.amdhsa_float_denorm_mode_16_64 3
		.amdhsa_dx10_clamp 1
		.amdhsa_ieee_mode 1
		.amdhsa_fp16_overflow 0
		.amdhsa_exception_fp_ieee_invalid_op 0
		.amdhsa_exception_fp_denorm_src 0
		.amdhsa_exception_fp_ieee_div_zero 0
		.amdhsa_exception_fp_ieee_overflow 0
		.amdhsa_exception_fp_ieee_underflow 0
		.amdhsa_exception_fp_ieee_inexact 0
		.amdhsa_exception_int_div_zero 0
	.end_amdhsa_kernel
	.text
.Lfunc_end0:
	.size	_Z34MerklizeRescuePrimeApproach1Phase0mPKmPmPK15HIP_vector_typeImLj4EES5_S5_, .Lfunc_end0-_Z34MerklizeRescuePrimeApproach1Phase0mPKmPmPK15HIP_vector_typeImLj4EES5_S5_
                                        ; -- End function
	.set _Z34MerklizeRescuePrimeApproach1Phase0mPKmPmPK15HIP_vector_typeImLj4EES5_S5_.num_vgpr, max(32, amdgpu.max_num_vgpr)
	.set _Z34MerklizeRescuePrimeApproach1Phase0mPKmPmPK15HIP_vector_typeImLj4EES5_S5_.num_agpr, max(0, amdgpu.max_num_agpr)
	.set _Z34MerklizeRescuePrimeApproach1Phase0mPKmPmPK15HIP_vector_typeImLj4EES5_S5_.numbered_sgpr, max(33, amdgpu.max_num_sgpr)
	.set _Z34MerklizeRescuePrimeApproach1Phase0mPKmPmPK15HIP_vector_typeImLj4EES5_S5_.num_named_barrier, max(0, amdgpu.max_num_named_barrier)
	.set _Z34MerklizeRescuePrimeApproach1Phase0mPKmPmPK15HIP_vector_typeImLj4EES5_S5_.private_seg_size, 0
	.set _Z34MerklizeRescuePrimeApproach1Phase0mPKmPmPK15HIP_vector_typeImLj4EES5_S5_.uses_vcc, 1
	.set _Z34MerklizeRescuePrimeApproach1Phase0mPKmPmPK15HIP_vector_typeImLj4EES5_S5_.uses_flat_scratch, 1
	.set _Z34MerklizeRescuePrimeApproach1Phase0mPKmPmPK15HIP_vector_typeImLj4EES5_S5_.has_dyn_sized_stack, 1
	.set _Z34MerklizeRescuePrimeApproach1Phase0mPKmPmPK15HIP_vector_typeImLj4EES5_S5_.has_recursion, 1
	.set _Z34MerklizeRescuePrimeApproach1Phase0mPKmPmPK15HIP_vector_typeImLj4EES5_S5_.has_indirect_call, 1
	.section	.AMDGPU.csdata,"",@progbits
; Kernel info:
; codeLenInByte = 220
; TotalNumSgprs: _Z34MerklizeRescuePrimeApproach1Phase0mPKmPmPK15HIP_vector_typeImLj4EES5_S5_.numbered_sgpr+6
; NumVgprs: _Z34MerklizeRescuePrimeApproach1Phase0mPKmPmPK15HIP_vector_typeImLj4EES5_S5_.num_vgpr
; ScratchSize: 0
; MemoryBound: 0
; FloatMode: 240
; IeeeMode: 1
; LDSByteSize: 0 bytes/workgroup (compile time only)
; SGPRBlocks: (alignto(max(max(_Z34MerklizeRescuePrimeApproach1Phase0mPKmPmPK15HIP_vector_typeImLj4EES5_S5_.numbered_sgpr+extrasgprs(_Z34MerklizeRescuePrimeApproach1Phase0mPKmPmPK15HIP_vector_typeImLj4EES5_S5_.uses_vcc, _Z34MerklizeRescuePrimeApproach1Phase0mPKmPmPK15HIP_vector_typeImLj4EES5_S5_.uses_flat_scratch, 1), 1, 0), 1), 8)/8)-1
; VGPRBlocks: (alignto(max(max(totalnumvgprs(_Z34MerklizeRescuePrimeApproach1Phase0mPKmPmPK15HIP_vector_typeImLj4EES5_S5_.num_agpr, _Z34MerklizeRescuePrimeApproach1Phase0mPKmPmPK15HIP_vector_typeImLj4EES5_S5_.num_vgpr), 1, 0), 1), 4)/4)-1
; NumSGPRsForWavesPerEU: max(_Z34MerklizeRescuePrimeApproach1Phase0mPKmPmPK15HIP_vector_typeImLj4EES5_S5_.numbered_sgpr+6, 1, 0)
; NumVGPRsForWavesPerEU: max(totalnumvgprs(_Z34MerklizeRescuePrimeApproach1Phase0mPKmPmPK15HIP_vector_typeImLj4EES5_S5_.num_agpr, _Z34MerklizeRescuePrimeApproach1Phase0mPKmPmPK15HIP_vector_typeImLj4EES5_S5_.num_vgpr), 1, 0)
; Occupancy: occupancy(10, 4, 256, 8, 10, max(_Z34MerklizeRescuePrimeApproach1Phase0mPKmPmPK15HIP_vector_typeImLj4EES5_S5_.numbered_sgpr+extrasgprs(_Z34MerklizeRescuePrimeApproach1Phase0mPKmPmPK15HIP_vector_typeImLj4EES5_S5_.uses_vcc, _Z34MerklizeRescuePrimeApproach1Phase0mPKmPmPK15HIP_vector_typeImLj4EES5_S5_.uses_flat_scratch, 1), 1, 0), max(totalnumvgprs(_Z34MerklizeRescuePrimeApproach1Phase0mPKmPmPK15HIP_vector_typeImLj4EES5_S5_.num_agpr, _Z34MerklizeRescuePrimeApproach1Phase0mPKmPmPK15HIP_vector_typeImLj4EES5_S5_.num_vgpr), 1, 0))
; WaveLimiterHint : 0
; COMPUTE_PGM_RSRC2:SCRATCH_EN: 1
; COMPUTE_PGM_RSRC2:USER_SGPR: 14
; COMPUTE_PGM_RSRC2:TRAP_HANDLER: 0
; COMPUTE_PGM_RSRC2:TGID_X_EN: 1
; COMPUTE_PGM_RSRC2:TGID_Y_EN: 1
; COMPUTE_PGM_RSRC2:TGID_Z_EN: 1
; COMPUTE_PGM_RSRC2:TIDIG_COMP_CNT: 2
	.text
	.protected	_Z34MerklizeRescuePrimeApproach1Phase1mPmPK15HIP_vector_typeImLj4EES3_S3_ ; -- Begin function _Z34MerklizeRescuePrimeApproach1Phase1mPmPK15HIP_vector_typeImLj4EES3_S3_
	.globl	_Z34MerklizeRescuePrimeApproach1Phase1mPmPK15HIP_vector_typeImLj4EES3_S3_
	.p2align	8
	.type	_Z34MerklizeRescuePrimeApproach1Phase1mPmPK15HIP_vector_typeImLj4EES3_S3_,@function
_Z34MerklizeRescuePrimeApproach1Phase1mPmPK15HIP_vector_typeImLj4EES3_S3_: ; @_Z34MerklizeRescuePrimeApproach1Phase1mPmPK15HIP_vector_typeImLj4EES3_S3_
; %bb.0:
	s_add_u32 flat_scratch_lo, s12, s17
	s_mov_b32 s12, s14
	s_load_dword s14, s[8:9], 0x34
	s_load_dwordx2 s[18:19], s[8:9], 0x20
	s_load_dwordx8 s[20:27], s[8:9], 0x0
	s_addc_u32 flat_scratch_hi, s13, 0
	s_add_u32 s0, s0, s17
	s_addc_u32 s1, s1, 0
	s_waitcnt lgkmcnt(0)
	s_and_b32 s14, s14, 0xffff
	s_mul_i32 s14, s12, s14
	s_mov_b32 s13, s15
	v_add_u32_e32 v3, s14, v0
	v_mov_b32_e32 v4, 0
	s_lshl_b64 s[14:15], s[20:21], 6
	s_add_u32 s14, s22, s14
	v_lshlrev_b64 v[4:5], 4, v[3:4]
	s_addc_u32 s15, s23, s15
	v_mov_b32_e32 v7, s15
	v_add_co_u32_e32 v6, vcc, s14, v4
	v_addc_co_u32_e32 v4, vcc, v7, v5, vcc
	v_mov_b32_e32 v5, s21
	v_add_co_u32_e32 v7, vcc, s20, v3
	v_addc_co_u32_e32 v8, vcc, 0, v5, vcc
	v_lshlrev_b64 v[7:8], 5, v[7:8]
	s_add_u32 s8, s8, 40
	v_mov_b32_e32 v3, s23
	v_add_co_u32_e32 v5, vcc, s22, v7
	s_addc_u32 s9, s9, 0
	v_lshlrev_b32_e32 v2, 20, v2
	v_lshlrev_b32_e32 v1, 10, v1
	v_addc_co_u32_e32 v3, vcc, v3, v8, vcc
	s_getpc_b64 s[20:21]
	s_add_u32 s20, s20, _Z5mergePKmPmPK15HIP_vector_typeImLj4EES5_S5_@rel32@lo+4
	s_addc_u32 s21, s21, _Z5mergePKmPmPK15HIP_vector_typeImLj4EES5_S5_@rel32@hi+12
	v_or3_b32 v31, v0, v1, v2
	s_mov_b32 s14, s16
	v_mov_b32_e32 v0, v6
	v_mov_b32_e32 v1, v4
	;; [unrolled: 1-line block ×9, first 2 shown]
	s_mov_b32 s32, 0
	s_swappc_b64 s[30:31], s[20:21]
	s_endpgm
	.section	.rodata,"a",@progbits
	.p2align	6, 0x0
	.amdhsa_kernel _Z34MerklizeRescuePrimeApproach1Phase1mPmPK15HIP_vector_typeImLj4EES3_S3_
		.amdhsa_group_segment_fixed_size 0
		.amdhsa_private_segment_fixed_size 0
		.amdhsa_kernarg_size 296
		.amdhsa_user_sgpr_count 14
		.amdhsa_user_sgpr_private_segment_buffer 1
		.amdhsa_user_sgpr_dispatch_ptr 1
		.amdhsa_user_sgpr_queue_ptr 1
		.amdhsa_user_sgpr_kernarg_segment_ptr 1
		.amdhsa_user_sgpr_dispatch_id 1
		.amdhsa_user_sgpr_flat_scratch_init 1
		.amdhsa_user_sgpr_private_segment_size 0
		.amdhsa_uses_dynamic_stack 1
		.amdhsa_system_sgpr_private_segment_wavefront_offset 1
		.amdhsa_system_sgpr_workgroup_id_x 1
		.amdhsa_system_sgpr_workgroup_id_y 1
		.amdhsa_system_sgpr_workgroup_id_z 1
		.amdhsa_system_sgpr_workgroup_info 0
		.amdhsa_system_vgpr_workitem_id 2
		.amdhsa_next_free_vgpr max(totalnumvgprs(_Z34MerklizeRescuePrimeApproach1Phase1mPmPK15HIP_vector_typeImLj4EES3_S3_.num_agpr, _Z34MerklizeRescuePrimeApproach1Phase1mPmPK15HIP_vector_typeImLj4EES3_S3_.num_vgpr), 1, 0)
		.amdhsa_next_free_sgpr max(_Z34MerklizeRescuePrimeApproach1Phase1mPmPK15HIP_vector_typeImLj4EES3_S3_.numbered_sgpr+6, 1, 0)-6
		.amdhsa_reserve_vcc 1
		.amdhsa_reserve_flat_scratch 1
		.amdhsa_float_round_mode_32 0
		.amdhsa_float_round_mode_16_64 0
		.amdhsa_float_denorm_mode_32 3
		.amdhsa_float_denorm_mode_16_64 3
		.amdhsa_dx10_clamp 1
		.amdhsa_ieee_mode 1
		.amdhsa_fp16_overflow 0
		.amdhsa_exception_fp_ieee_invalid_op 0
		.amdhsa_exception_fp_denorm_src 0
		.amdhsa_exception_fp_ieee_div_zero 0
		.amdhsa_exception_fp_ieee_overflow 0
		.amdhsa_exception_fp_ieee_underflow 0
		.amdhsa_exception_fp_ieee_inexact 0
		.amdhsa_exception_int_div_zero 0
	.end_amdhsa_kernel
	.text
.Lfunc_end1:
	.size	_Z34MerklizeRescuePrimeApproach1Phase1mPmPK15HIP_vector_typeImLj4EES3_S3_, .Lfunc_end1-_Z34MerklizeRescuePrimeApproach1Phase1mPmPK15HIP_vector_typeImLj4EES3_S3_
                                        ; -- End function
	.set _Z34MerklizeRescuePrimeApproach1Phase1mPmPK15HIP_vector_typeImLj4EES3_S3_.num_vgpr, max(32, amdgpu.max_num_vgpr)
	.set _Z34MerklizeRescuePrimeApproach1Phase1mPmPK15HIP_vector_typeImLj4EES3_S3_.num_agpr, max(0, amdgpu.max_num_agpr)
	.set _Z34MerklizeRescuePrimeApproach1Phase1mPmPK15HIP_vector_typeImLj4EES3_S3_.numbered_sgpr, max(33, amdgpu.max_num_sgpr)
	.set _Z34MerklizeRescuePrimeApproach1Phase1mPmPK15HIP_vector_typeImLj4EES3_S3_.num_named_barrier, max(0, amdgpu.max_num_named_barrier)
	.set _Z34MerklizeRescuePrimeApproach1Phase1mPmPK15HIP_vector_typeImLj4EES3_S3_.private_seg_size, 0
	.set _Z34MerklizeRescuePrimeApproach1Phase1mPmPK15HIP_vector_typeImLj4EES3_S3_.uses_vcc, 1
	.set _Z34MerklizeRescuePrimeApproach1Phase1mPmPK15HIP_vector_typeImLj4EES3_S3_.uses_flat_scratch, 1
	.set _Z34MerklizeRescuePrimeApproach1Phase1mPmPK15HIP_vector_typeImLj4EES3_S3_.has_dyn_sized_stack, 1
	.set _Z34MerklizeRescuePrimeApproach1Phase1mPmPK15HIP_vector_typeImLj4EES3_S3_.has_recursion, 1
	.set _Z34MerklizeRescuePrimeApproach1Phase1mPmPK15HIP_vector_typeImLj4EES3_S3_.has_indirect_call, 1
	.section	.AMDGPU.csdata,"",@progbits
; Kernel info:
; codeLenInByte = 232
; TotalNumSgprs: _Z34MerklizeRescuePrimeApproach1Phase1mPmPK15HIP_vector_typeImLj4EES3_S3_.numbered_sgpr+6
; NumVgprs: _Z34MerklizeRescuePrimeApproach1Phase1mPmPK15HIP_vector_typeImLj4EES3_S3_.num_vgpr
; ScratchSize: 0
; MemoryBound: 0
; FloatMode: 240
; IeeeMode: 1
; LDSByteSize: 0 bytes/workgroup (compile time only)
; SGPRBlocks: (alignto(max(max(_Z34MerklizeRescuePrimeApproach1Phase1mPmPK15HIP_vector_typeImLj4EES3_S3_.numbered_sgpr+extrasgprs(_Z34MerklizeRescuePrimeApproach1Phase1mPmPK15HIP_vector_typeImLj4EES3_S3_.uses_vcc, _Z34MerklizeRescuePrimeApproach1Phase1mPmPK15HIP_vector_typeImLj4EES3_S3_.uses_flat_scratch, 1), 1, 0), 1), 8)/8)-1
; VGPRBlocks: (alignto(max(max(totalnumvgprs(_Z34MerklizeRescuePrimeApproach1Phase1mPmPK15HIP_vector_typeImLj4EES3_S3_.num_agpr, _Z34MerklizeRescuePrimeApproach1Phase1mPmPK15HIP_vector_typeImLj4EES3_S3_.num_vgpr), 1, 0), 1), 4)/4)-1
; NumSGPRsForWavesPerEU: max(_Z34MerklizeRescuePrimeApproach1Phase1mPmPK15HIP_vector_typeImLj4EES3_S3_.numbered_sgpr+6, 1, 0)
; NumVGPRsForWavesPerEU: max(totalnumvgprs(_Z34MerklizeRescuePrimeApproach1Phase1mPmPK15HIP_vector_typeImLj4EES3_S3_.num_agpr, _Z34MerklizeRescuePrimeApproach1Phase1mPmPK15HIP_vector_typeImLj4EES3_S3_.num_vgpr), 1, 0)
; Occupancy: occupancy(10, 4, 256, 8, 10, max(_Z34MerklizeRescuePrimeApproach1Phase1mPmPK15HIP_vector_typeImLj4EES3_S3_.numbered_sgpr+extrasgprs(_Z34MerklizeRescuePrimeApproach1Phase1mPmPK15HIP_vector_typeImLj4EES3_S3_.uses_vcc, _Z34MerklizeRescuePrimeApproach1Phase1mPmPK15HIP_vector_typeImLj4EES3_S3_.uses_flat_scratch, 1), 1, 0), max(totalnumvgprs(_Z34MerklizeRescuePrimeApproach1Phase1mPmPK15HIP_vector_typeImLj4EES3_S3_.num_agpr, _Z34MerklizeRescuePrimeApproach1Phase1mPmPK15HIP_vector_typeImLj4EES3_S3_.num_vgpr), 1, 0))
; WaveLimiterHint : 0
; COMPUTE_PGM_RSRC2:SCRATCH_EN: 1
; COMPUTE_PGM_RSRC2:USER_SGPR: 14
; COMPUTE_PGM_RSRC2:TRAP_HANDLER: 0
; COMPUTE_PGM_RSRC2:TGID_X_EN: 1
; COMPUTE_PGM_RSRC2:TGID_Y_EN: 1
; COMPUTE_PGM_RSRC2:TGID_Z_EN: 1
; COMPUTE_PGM_RSRC2:TIDIG_COMP_CNT: 2
	.section	.AMDGPU.gpr_maximums,"",@progbits
	.set amdgpu.max_num_vgpr, 0
	.set amdgpu.max_num_agpr, 0
	.set amdgpu.max_num_sgpr, 0
	.section	.AMDGPU.csdata,"",@progbits
	.type	__hip_cuid_b73995f939ebc0d1,@object ; @__hip_cuid_b73995f939ebc0d1
	.section	.bss,"aw",@nobits
	.globl	__hip_cuid_b73995f939ebc0d1
__hip_cuid_b73995f939ebc0d1:
	.byte	0                               ; 0x0
	.size	__hip_cuid_b73995f939ebc0d1, 1

	.hidden	_Z5mergePKmPmPK15HIP_vector_typeImLj4EES5_S5_
	.ident	"AMD clang version 22.0.0git (https://github.com/RadeonOpenCompute/llvm-project roc-7.2.4 26084 f58b06dce1f9c15707c5f808fd002e18c2accf7e)"
	.section	".note.GNU-stack","",@progbits
	.addrsig
	.addrsig_sym __hip_cuid_b73995f939ebc0d1
	.amdgpu_metadata
---
amdhsa.kernels:
  - .args:
      - .offset:         0
        .size:           8
        .value_kind:     by_value
      - .address_space:  global
        .offset:         8
        .size:           8
        .value_kind:     global_buffer
      - .address_space:  global
        .offset:         16
        .size:           8
        .value_kind:     global_buffer
      - .address_space:  global
        .offset:         24
        .size:           8
        .value_kind:     global_buffer
      - .address_space:  global
        .offset:         32
        .size:           8
        .value_kind:     global_buffer
      - .address_space:  global
        .offset:         40
        .size:           8
        .value_kind:     global_buffer
      - .offset:         48
        .size:           4
        .value_kind:     hidden_block_count_x
      - .offset:         52
        .size:           4
        .value_kind:     hidden_block_count_y
      - .offset:         56
        .size:           4
        .value_kind:     hidden_block_count_z
      - .offset:         60
        .size:           2
        .value_kind:     hidden_group_size_x
      - .offset:         62
        .size:           2
        .value_kind:     hidden_group_size_y
      - .offset:         64
        .size:           2
        .value_kind:     hidden_group_size_z
      - .offset:         66
        .size:           2
        .value_kind:     hidden_remainder_x
      - .offset:         68
        .size:           2
        .value_kind:     hidden_remainder_y
      - .offset:         70
        .size:           2
        .value_kind:     hidden_remainder_z
      - .offset:         88
        .size:           8
        .value_kind:     hidden_global_offset_x
      - .offset:         96
        .size:           8
        .value_kind:     hidden_global_offset_y
      - .offset:         104
        .size:           8
        .value_kind:     hidden_global_offset_z
      - .offset:         112
        .size:           2
        .value_kind:     hidden_grid_dims
      - .offset:         128
        .size:           8
        .value_kind:     hidden_hostcall_buffer
      - .offset:         136
        .size:           8
        .value_kind:     hidden_multigrid_sync_arg
      - .offset:         144
        .size:           8
        .value_kind:     hidden_heap_v1
      - .offset:         152
        .size:           8
        .value_kind:     hidden_default_queue
      - .offset:         160
        .size:           8
        .value_kind:     hidden_completion_action
      - .offset:         248
        .size:           8
        .value_kind:     hidden_queue_ptr
    .group_segment_fixed_size: 0
    .kernarg_segment_align: 8
    .kernarg_segment_size: 304
    .language:       OpenCL C
    .language_version:
      - 2
      - 0
    .max_flat_workgroup_size: 1024
    .name:           _Z34MerklizeRescuePrimeApproach1Phase0mPKmPmPK15HIP_vector_typeImLj4EES5_S5_
    .private_segment_fixed_size: 0
    .sgpr_count:     39
    .sgpr_spill_count: 0
    .symbol:         _Z34MerklizeRescuePrimeApproach1Phase0mPKmPmPK15HIP_vector_typeImLj4EES5_S5_.kd
    .uniform_work_group_size: 1
    .uses_dynamic_stack: true
    .vgpr_count:     32
    .vgpr_spill_count: 0
    .wavefront_size: 64
  - .args:
      - .offset:         0
        .size:           8
        .value_kind:     by_value
      - .address_space:  global
        .offset:         8
        .size:           8
        .value_kind:     global_buffer
      - .address_space:  global
        .offset:         16
        .size:           8
        .value_kind:     global_buffer
      - .address_space:  global
        .offset:         24
        .size:           8
        .value_kind:     global_buffer
      - .address_space:  global
        .offset:         32
        .size:           8
        .value_kind:     global_buffer
      - .offset:         40
        .size:           4
        .value_kind:     hidden_block_count_x
      - .offset:         44
        .size:           4
        .value_kind:     hidden_block_count_y
      - .offset:         48
        .size:           4
        .value_kind:     hidden_block_count_z
      - .offset:         52
        .size:           2
        .value_kind:     hidden_group_size_x
      - .offset:         54
        .size:           2
        .value_kind:     hidden_group_size_y
      - .offset:         56
        .size:           2
        .value_kind:     hidden_group_size_z
      - .offset:         58
        .size:           2
        .value_kind:     hidden_remainder_x
      - .offset:         60
        .size:           2
        .value_kind:     hidden_remainder_y
      - .offset:         62
        .size:           2
        .value_kind:     hidden_remainder_z
      - .offset:         80
        .size:           8
        .value_kind:     hidden_global_offset_x
      - .offset:         88
        .size:           8
        .value_kind:     hidden_global_offset_y
      - .offset:         96
        .size:           8
        .value_kind:     hidden_global_offset_z
      - .offset:         104
        .size:           2
        .value_kind:     hidden_grid_dims
      - .offset:         120
        .size:           8
        .value_kind:     hidden_hostcall_buffer
      - .offset:         128
        .size:           8
        .value_kind:     hidden_multigrid_sync_arg
      - .offset:         136
        .size:           8
        .value_kind:     hidden_heap_v1
      - .offset:         144
        .size:           8
        .value_kind:     hidden_default_queue
      - .offset:         152
        .size:           8
        .value_kind:     hidden_completion_action
      - .offset:         240
        .size:           8
        .value_kind:     hidden_queue_ptr
    .group_segment_fixed_size: 0
    .kernarg_segment_align: 8
    .kernarg_segment_size: 296
    .language:       OpenCL C
    .language_version:
      - 2
      - 0
    .max_flat_workgroup_size: 1024
    .name:           _Z34MerklizeRescuePrimeApproach1Phase1mPmPK15HIP_vector_typeImLj4EES3_S3_
    .private_segment_fixed_size: 0
    .sgpr_count:     39
    .sgpr_spill_count: 0
    .symbol:         _Z34MerklizeRescuePrimeApproach1Phase1mPmPK15HIP_vector_typeImLj4EES3_S3_.kd
    .uniform_work_group_size: 1
    .uses_dynamic_stack: true
    .vgpr_count:     32
    .vgpr_spill_count: 0
    .wavefront_size: 64
amdhsa.target:   amdgcn-amd-amdhsa--gfx906
amdhsa.version:
  - 1
  - 2
...

	.end_amdgpu_metadata
